;; amdgpu-corpus repo=ROCm/rocFFT kind=compiled arch=gfx906 opt=O3
	.text
	.amdgcn_target "amdgcn-amd-amdhsa--gfx906"
	.amdhsa_code_object_version 6
	.protected	bluestein_single_back_len486_dim1_dp_op_CI_CI ; -- Begin function bluestein_single_back_len486_dim1_dp_op_CI_CI
	.globl	bluestein_single_back_len486_dim1_dp_op_CI_CI
	.p2align	8
	.type	bluestein_single_back_len486_dim1_dp_op_CI_CI,@function
bluestein_single_back_len486_dim1_dp_op_CI_CI: ; @bluestein_single_back_len486_dim1_dp_op_CI_CI
; %bb.0:
	s_load_dwordx4 s[0:3], s[4:5], 0x28
	v_mul_u32_u24_e32 v1, 0x195, v0
	v_add_u32_sdwa v56, s6, v1 dst_sel:DWORD dst_unused:UNUSED_PAD src0_sel:DWORD src1_sel:WORD_1
	v_mov_b32_e32 v57, 0
	s_waitcnt lgkmcnt(0)
	v_cmp_gt_u64_e32 vcc, s[0:1], v[56:57]
	s_and_saveexec_b64 s[0:1], vcc
	s_cbranch_execz .LBB0_15
; %bb.1:
	s_load_dwordx2 s[14:15], s[4:5], 0x0
	s_load_dwordx2 s[12:13], s[4:5], 0x38
	s_movk_i32 s0, 0xa2
	v_mul_lo_u16_sdwa v1, v1, s0 dst_sel:DWORD dst_unused:UNUSED_PAD src0_sel:WORD_1 src1_sel:DWORD
	v_sub_u16_e32 v57, v0, v1
	s_movk_i32 s0, 0x51
	v_cmp_gt_u16_e64 s[0:1], s0, v57
	v_lshlrev_b32_e32 v58, 4, v57
	s_and_saveexec_b64 s[6:7], s[0:1]
	s_cbranch_execz .LBB0_3
; %bb.2:
	s_load_dwordx2 s[8:9], s[4:5], 0x18
	s_waitcnt lgkmcnt(0)
	s_load_dwordx4 s[8:11], s[8:9], 0x0
	s_waitcnt lgkmcnt(0)
	v_mad_u64_u32 v[0:1], s[16:17], s10, v56, 0
	v_mad_u64_u32 v[2:3], s[16:17], s8, v57, 0
	;; [unrolled: 1-line block ×4, first 2 shown]
	v_mov_b32_e32 v1, v4
	v_lshlrev_b64 v[0:1], 4, v[0:1]
	v_mov_b32_e32 v3, v5
	v_mov_b32_e32 v6, s3
	v_lshlrev_b64 v[2:3], 4, v[2:3]
	v_add_co_u32_e32 v0, vcc, s2, v0
	v_addc_co_u32_e32 v1, vcc, v6, v1, vcc
	v_add_co_u32_e32 v16, vcc, v0, v2
	s_mul_i32 s2, s9, 0x510
	s_mul_hi_u32 s3, s8, 0x510
	v_addc_co_u32_e32 v17, vcc, v1, v3, vcc
	s_add_i32 s2, s3, s2
	s_mul_i32 s3, s8, 0x510
	v_mov_b32_e32 v0, s2
	v_add_co_u32_e32 v18, vcc, s3, v16
	v_addc_co_u32_e32 v19, vcc, v17, v0, vcc
	global_load_dwordx4 v[0:3], v58, s[14:15]
	global_load_dwordx4 v[4:7], v58, s[14:15] offset:1296
	global_load_dwordx4 v[8:11], v[16:17], off
	global_load_dwordx4 v[12:15], v[18:19], off
	v_mov_b32_e32 v16, s2
	v_add_co_u32_e32 v32, vcc, s3, v18
	v_addc_co_u32_e32 v33, vcc, v19, v16, vcc
	v_add_co_u32_e32 v34, vcc, s3, v32
	v_addc_co_u32_e32 v35, vcc, v33, v16, vcc
	global_load_dwordx4 v[16:19], v58, s[14:15] offset:2592
	global_load_dwordx4 v[20:23], v58, s[14:15] offset:3888
	global_load_dwordx4 v[24:27], v[32:33], off
	global_load_dwordx4 v[28:31], v[34:35], off
	v_mov_b32_e32 v32, s15
	v_add_co_u32_e32 v33, vcc, s14, v58
	s_movk_i32 s8, 0x1000
	v_addc_co_u32_e32 v32, vcc, 0, v32, vcc
	v_add_co_u32_e32 v44, vcc, s8, v33
	v_addc_co_u32_e32 v45, vcc, 0, v32, vcc
	v_mov_b32_e32 v32, s2
	v_add_co_u32_e32 v46, vcc, s3, v34
	v_addc_co_u32_e32 v47, vcc, v35, v32, vcc
	global_load_dwordx4 v[32:35], v[46:47], off
	global_load_dwordx4 v[36:39], v[44:45], off offset:1088
	global_load_dwordx4 v[40:43], v[44:45], off offset:2384
	v_mov_b32_e32 v45, s2
	v_add_co_u32_e32 v44, vcc, s3, v46
	v_addc_co_u32_e32 v45, vcc, v47, v45, vcc
	global_load_dwordx4 v[44:47], v[44:45], off
	s_waitcnt vmcnt(9)
	v_mul_f64 v[48:49], v[10:11], v[2:3]
	v_mul_f64 v[2:3], v[8:9], v[2:3]
	s_waitcnt vmcnt(8)
	v_mul_f64 v[50:51], v[14:15], v[6:7]
	v_mul_f64 v[52:53], v[12:13], v[6:7]
	v_fma_f64 v[6:7], v[8:9], v[0:1], v[48:49]
	v_fma_f64 v[8:9], v[10:11], v[0:1], -v[2:3]
	s_waitcnt vmcnt(5)
	v_mul_f64 v[54:55], v[26:27], v[18:19]
	v_mul_f64 v[18:19], v[24:25], v[18:19]
	s_waitcnt vmcnt(4)
	v_mul_f64 v[59:60], v[30:31], v[22:23]
	v_mul_f64 v[22:23], v[28:29], v[22:23]
	v_fma_f64 v[0:1], v[12:13], v[4:5], v[50:51]
	v_fma_f64 v[2:3], v[14:15], v[4:5], -v[52:53]
	v_fma_f64 v[10:11], v[24:25], v[16:17], v[54:55]
	v_fma_f64 v[12:13], v[26:27], v[16:17], -v[18:19]
	;; [unrolled: 2-line block ×3, first 2 shown]
	s_waitcnt vmcnt(2)
	v_mul_f64 v[61:62], v[34:35], v[38:39]
	v_mul_f64 v[38:39], v[32:33], v[38:39]
	s_waitcnt vmcnt(0)
	v_mul_f64 v[63:64], v[46:47], v[42:43]
	v_mul_f64 v[42:43], v[44:45], v[42:43]
	v_fma_f64 v[18:19], v[32:33], v[36:37], v[61:62]
	v_fma_f64 v[20:21], v[34:35], v[36:37], -v[38:39]
	v_fma_f64 v[22:23], v[44:45], v[40:41], v[63:64]
	v_fma_f64 v[24:25], v[46:47], v[40:41], -v[42:43]
	ds_write_b128 v58, v[6:9]
	ds_write_b128 v58, v[0:3] offset:1296
	ds_write_b128 v58, v[10:13] offset:2592
	;; [unrolled: 1-line block ×5, first 2 shown]
.LBB0_3:
	s_or_b64 exec, exec, s[6:7]
	s_load_dwordx2 s[6:7], s[4:5], 0x20
	s_load_dwordx2 s[2:3], s[4:5], 0x8
	s_waitcnt lgkmcnt(0)
	s_barrier
	s_waitcnt lgkmcnt(0)
                                        ; implicit-def: $vgpr4_vgpr5
                                        ; implicit-def: $vgpr0_vgpr1
                                        ; implicit-def: $vgpr8_vgpr9
                                        ; implicit-def: $vgpr16_vgpr17
                                        ; implicit-def: $vgpr20_vgpr21
                                        ; implicit-def: $vgpr12_vgpr13
	s_and_saveexec_b64 s[4:5], s[0:1]
	s_cbranch_execz .LBB0_5
; %bb.4:
	ds_read_b128 v[4:7], v58
	ds_read_b128 v[0:3], v58 offset:1296
	ds_read_b128 v[8:11], v58 offset:2592
	;; [unrolled: 1-line block ×5, first 2 shown]
.LBB0_5:
	s_or_b64 exec, exec, s[4:5]
	s_waitcnt lgkmcnt(1)
	v_add_f64 v[24:25], v[8:9], v[20:21]
	v_add_f64 v[26:27], v[10:11], v[22:23]
	s_waitcnt lgkmcnt(0)
	v_add_f64 v[28:29], v[18:19], v[14:15]
	v_add_f64 v[32:33], v[16:17], v[12:13]
	;; [unrolled: 1-line block ×4, first 2 shown]
	s_mov_b32 s8, 0xe8584caa
	s_mov_b32 s9, 0x3febb67a
	v_fma_f64 v[4:5], v[24:25], -0.5, v[4:5]
	v_fma_f64 v[24:25], v[26:27], -0.5, v[6:7]
	;; [unrolled: 1-line block ×3, first 2 shown]
	v_add_f64 v[26:27], v[16:17], -v[12:13]
	v_fma_f64 v[28:29], v[32:33], -0.5, v[0:1]
	v_add_f64 v[32:33], v[18:19], -v[14:15]
	s_mov_b32 s11, 0xbfebb67a
	s_mov_b32 s10, s8
	v_add_f64 v[10:11], v[10:11], -v[22:23]
	v_add_f64 v[8:9], v[8:9], -v[20:21]
	v_add_f64 v[16:17], v[0:1], v[16:17]
	v_fma_f64 v[36:37], v[26:27], s[10:11], v[6:7]
	v_add_f64 v[18:19], v[2:3], v[18:19]
	v_fma_f64 v[38:39], v[32:33], s[8:9], v[28:29]
	v_fma_f64 v[32:33], v[32:33], s[10:11], v[28:29]
	v_fma_f64 v[28:29], v[26:27], s[8:9], v[6:7]
	v_add_f64 v[0:1], v[30:31], v[20:21]
	v_fma_f64 v[2:3], v[10:11], s[8:9], v[4:5]
	v_fma_f64 v[4:5], v[10:11], s[10:11], v[4:5]
	v_mul_f64 v[30:31], v[36:37], s[8:9]
	v_add_f64 v[6:7], v[34:35], v[22:23]
	v_mul_f64 v[10:11], v[38:39], s[10:11]
	v_mul_f64 v[40:41], v[32:33], -0.5
	v_mul_f64 v[42:43], v[28:29], -0.5
	v_fma_f64 v[20:21], v[8:9], s[10:11], v[24:25]
	v_fma_f64 v[22:23], v[8:9], s[8:9], v[24:25]
	v_add_f64 v[26:27], v[16:17], v[12:13]
	v_fma_f64 v[24:25], v[38:39], 0.5, v[30:31]
	v_add_f64 v[34:35], v[18:19], v[14:15]
	v_fma_f64 v[30:31], v[36:37], 0.5, v[10:11]
	v_fma_f64 v[28:29], v[28:29], s[8:9], v[40:41]
	v_fma_f64 v[32:33], v[32:33], s[10:11], v[42:43]
	v_mul_lo_u16_e32 v59, 6, v57
	v_add_f64 v[12:13], v[0:1], -v[26:27]
	v_add_f64 v[8:9], v[2:3], -v[24:25]
	;; [unrolled: 1-line block ×6, first 2 shown]
	s_barrier
	s_and_saveexec_b64 s[4:5], s[0:1]
	s_cbranch_execz .LBB0_7
; %bb.6:
	v_add_f64 v[36:37], v[6:7], v[34:35]
	v_add_f64 v[34:35], v[0:1], v[26:27]
	;; [unrolled: 1-line block ×6, first 2 shown]
	v_lshlrev_b32_e32 v0, 4, v59
	ds_write_b128 v0, v[34:37]
	ds_write_b128 v0, v[20:23] offset:16
	ds_write_b128 v0, v[4:7] offset:32
	;; [unrolled: 1-line block ×5, first 2 shown]
.LBB0_7:
	s_or_b64 exec, exec, s[4:5]
	s_movk_i32 s16, 0xab
	v_mul_lo_u16_sdwa v0, v57, s16 dst_sel:DWORD dst_unused:UNUSED_PAD src0_sel:BYTE_0 src1_sel:DWORD
	v_lshrrev_b16_e32 v40, 10, v0
	v_mul_lo_u16_e32 v0, 6, v40
	v_sub_u16_e32 v0, v57, v0
	v_and_b32_e32 v41, 0xff, v0
	v_lshlrev_b32_e32 v20, 5, v41
	s_load_dwordx4 s[4:7], s[6:7], 0x0
	s_waitcnt lgkmcnt(0)
	s_barrier
	global_load_dwordx4 v[4:7], v20, s[2:3]
	global_load_dwordx4 v[0:3], v20, s[2:3] offset:16
	ds_read_b128 v[20:23], v58 offset:2592
	ds_read_b128 v[24:27], v58 offset:5184
	ds_read_b128 v[28:31], v58
	v_mul_u32_u24_e32 v40, 18, v40
	v_add_lshl_u32 v60, v40, v41, 4
	s_waitcnt vmcnt(0) lgkmcnt(0)
	s_barrier
	v_mul_f64 v[32:33], v[22:23], v[6:7]
	v_mul_f64 v[34:35], v[26:27], v[2:3]
	;; [unrolled: 1-line block ×4, first 2 shown]
	v_fma_f64 v[20:21], v[20:21], v[4:5], -v[32:33]
	v_fma_f64 v[24:25], v[24:25], v[0:1], -v[34:35]
	v_fma_f64 v[22:23], v[22:23], v[4:5], v[36:37]
	v_fma_f64 v[26:27], v[26:27], v[0:1], v[38:39]
	v_mov_b32_e32 v34, 57
	v_mul_lo_u16_sdwa v36, v57, v34 dst_sel:DWORD dst_unused:UNUSED_PAD src0_sel:BYTE_0 src1_sel:DWORD
	v_lshrrev_b16_e32 v48, 10, v36
	v_add_f64 v[36:37], v[28:29], v[20:21]
	v_add_f64 v[32:33], v[20:21], v[24:25]
	;; [unrolled: 1-line block ×3, first 2 shown]
	v_add_f64 v[38:39], v[22:23], -v[26:27]
	v_add_f64 v[22:23], v[30:31], v[22:23]
	v_fma_f64 v[28:29], v[32:33], -0.5, v[28:29]
	v_add_f64 v[32:33], v[20:21], -v[24:25]
	v_fma_f64 v[30:31], v[34:35], -0.5, v[30:31]
	v_mul_lo_u16_e32 v20, 18, v48
	v_sub_u16_e32 v20, v57, v20
	v_and_b32_e32 v49, 0xff, v20
	v_add_f64 v[20:21], v[36:37], v[24:25]
	v_add_f64 v[22:23], v[22:23], v[26:27]
	v_fma_f64 v[24:25], v[38:39], s[8:9], v[28:29]
	v_fma_f64 v[28:29], v[38:39], s[10:11], v[28:29]
	;; [unrolled: 1-line block ×4, first 2 shown]
	v_lshlrev_b32_e32 v32, 5, v49
	ds_write_b128 v60, v[20:23]
	ds_write_b128 v60, v[24:27] offset:96
	ds_write_b128 v60, v[28:31] offset:192
	s_waitcnt lgkmcnt(0)
	s_barrier
	global_load_dwordx4 v[24:27], v32, s[2:3] offset:192
	global_load_dwordx4 v[20:23], v32, s[2:3] offset:208
	ds_read_b128 v[28:31], v58 offset:2592
	ds_read_b128 v[32:35], v58 offset:5184
	ds_read_b128 v[36:39], v58
	v_mul_u32_u24_e32 v48, 54, v48
	v_add_lshl_u32 v61, v48, v49, 4
	s_waitcnt vmcnt(0) lgkmcnt(0)
	s_barrier
	v_mul_f64 v[40:41], v[30:31], v[26:27]
	v_mul_f64 v[42:43], v[34:35], v[22:23]
	;; [unrolled: 1-line block ×4, first 2 shown]
	v_fma_f64 v[28:29], v[28:29], v[24:25], -v[40:41]
	v_fma_f64 v[32:33], v[32:33], v[20:21], -v[42:43]
	v_fma_f64 v[30:31], v[30:31], v[24:25], v[44:45]
	v_fma_f64 v[34:35], v[34:35], v[20:21], v[46:47]
	v_mov_b32_e32 v42, 19
	v_mul_lo_u16_sdwa v44, v57, v42 dst_sel:DWORD dst_unused:UNUSED_PAD src0_sel:BYTE_0 src1_sel:DWORD
	v_lshrrev_b16_e32 v64, 10, v44
	v_add_f64 v[44:45], v[36:37], v[28:29]
	v_add_f64 v[40:41], v[28:29], v[32:33]
	;; [unrolled: 1-line block ×3, first 2 shown]
	v_add_f64 v[46:47], v[30:31], -v[34:35]
	v_add_f64 v[30:31], v[38:39], v[30:31]
	v_fma_f64 v[36:37], v[40:41], -0.5, v[36:37]
	v_add_f64 v[40:41], v[28:29], -v[32:33]
	v_fma_f64 v[38:39], v[42:43], -0.5, v[38:39]
	v_mul_lo_u16_e32 v28, 54, v64
	v_sub_u16_e32 v28, v57, v28
	v_and_b32_e32 v65, 0xff, v28
	v_add_f64 v[28:29], v[44:45], v[32:33]
	v_add_f64 v[30:31], v[30:31], v[34:35]
	v_fma_f64 v[32:33], v[46:47], s[8:9], v[36:37]
	v_fma_f64 v[36:37], v[46:47], s[10:11], v[36:37]
	;; [unrolled: 1-line block ×4, first 2 shown]
	v_lshlrev_b32_e32 v40, 5, v65
	ds_write_b128 v61, v[28:31]
	ds_write_b128 v61, v[32:35] offset:288
	ds_write_b128 v61, v[36:39] offset:576
	s_waitcnt lgkmcnt(0)
	s_barrier
	global_load_dwordx4 v[32:35], v40, s[2:3] offset:768
	global_load_dwordx4 v[28:31], v40, s[2:3] offset:784
	ds_read_b128 v[36:39], v58 offset:2592
	ds_read_b128 v[40:43], v58 offset:5184
	ds_read_b128 v[44:47], v58
	s_waitcnt vmcnt(0) lgkmcnt(0)
	s_barrier
	v_mul_f64 v[48:49], v[38:39], v[34:35]
	v_mul_f64 v[50:51], v[42:43], v[30:31]
	;; [unrolled: 1-line block ×4, first 2 shown]
	v_fma_f64 v[36:37], v[36:37], v[32:33], -v[48:49]
	v_fma_f64 v[40:41], v[40:41], v[28:29], -v[50:51]
	v_fma_f64 v[38:39], v[38:39], v[32:33], v[52:53]
	v_fma_f64 v[42:43], v[42:43], v[28:29], v[54:55]
	v_add_f64 v[54:55], v[44:45], v[36:37]
	v_add_f64 v[48:49], v[36:37], v[40:41]
	v_add_f64 v[52:53], v[46:47], v[38:39]
	v_add_f64 v[50:51], v[38:39], v[42:43]
	v_add_f64 v[62:63], v[38:39], -v[42:43]
	v_fma_f64 v[44:45], v[48:49], -0.5, v[44:45]
	v_add_f64 v[48:49], v[36:37], -v[40:41]
	v_fma_f64 v[46:47], v[50:51], -0.5, v[46:47]
	v_add_f64 v[38:39], v[52:53], v[42:43]
	v_add_f64 v[36:37], v[54:55], v[40:41]
	v_lshlrev_b32_e32 v50, 5, v57
	v_fma_f64 v[40:41], v[62:63], s[8:9], v[44:45]
	v_fma_f64 v[44:45], v[62:63], s[10:11], v[44:45]
	;; [unrolled: 1-line block ×4, first 2 shown]
	v_mul_u32_u24_e32 v48, 0xa2, v64
	v_add_lshl_u32 v62, v48, v65, 4
	ds_write_b128 v62, v[36:39]
	ds_write_b128 v62, v[40:43] offset:864
	ds_write_b128 v62, v[44:47] offset:1728
	s_waitcnt lgkmcnt(0)
	s_barrier
	global_load_dwordx4 v[36:39], v50, s[2:3] offset:2496
	global_load_dwordx4 v[40:43], v50, s[2:3] offset:2512
	ds_read_b128 v[44:47], v58 offset:2592
	ds_read_b128 v[48:51], v58 offset:5184
	ds_read_b128 v[52:55], v58
	s_waitcnt vmcnt(1) lgkmcnt(2)
	v_mul_f64 v[63:64], v[46:47], v[38:39]
	s_waitcnt vmcnt(0) lgkmcnt(1)
	v_mul_f64 v[65:66], v[50:51], v[42:43]
	v_mul_f64 v[67:68], v[44:45], v[38:39]
	;; [unrolled: 1-line block ×3, first 2 shown]
	v_fma_f64 v[44:45], v[44:45], v[36:37], -v[63:64]
	v_fma_f64 v[48:49], v[48:49], v[40:41], -v[65:66]
	v_fma_f64 v[46:47], v[46:47], v[36:37], v[67:68]
	v_fma_f64 v[50:51], v[50:51], v[40:41], v[69:70]
	s_waitcnt lgkmcnt(0)
	v_add_f64 v[69:70], v[52:53], v[44:45]
	v_add_f64 v[63:64], v[44:45], v[48:49]
	;; [unrolled: 1-line block ×4, first 2 shown]
	v_add_f64 v[71:72], v[46:47], -v[50:51]
	v_fma_f64 v[52:53], v[63:64], -0.5, v[52:53]
	v_add_f64 v[63:64], v[44:45], -v[48:49]
	v_fma_f64 v[54:55], v[65:66], -0.5, v[54:55]
	v_add_f64 v[46:47], v[67:68], v[50:51]
	v_add_f64 v[44:45], v[69:70], v[48:49]
	v_fma_f64 v[48:49], v[71:72], s[8:9], v[52:53]
	v_fma_f64 v[52:53], v[71:72], s[10:11], v[52:53]
	;; [unrolled: 1-line block ×4, first 2 shown]
	ds_write_b128 v58, v[44:47]
	ds_write_b128 v58, v[48:51] offset:2592
	ds_write_b128 v58, v[52:55] offset:5184
	s_waitcnt lgkmcnt(0)
	s_barrier
	s_and_saveexec_b64 s[2:3], s[0:1]
	s_cbranch_execz .LBB0_9
; %bb.8:
	v_add_co_u32_e32 v77, vcc, s14, v58
	v_mov_b32_e32 v63, s15
	v_addc_co_u32_e32 v78, vcc, 0, v63, vcc
	v_add_co_u32_e32 v75, vcc, 0x1e60, v77
	v_addc_co_u32_e32 v76, vcc, 0, v78, vcc
	v_add_co_u32_e32 v67, vcc, 0x1000, v77
	v_addc_co_u32_e32 v68, vcc, 0, v78, vcc
	global_load_dwordx4 v[67:70], v[67:68], off offset:3680
	ds_read_b128 v[63:66], v58
	s_movk_i32 s8, 0x3000
	s_waitcnt vmcnt(0) lgkmcnt(0)
	v_mul_f64 v[71:72], v[65:66], v[69:70]
	v_fma_f64 v[71:72], v[63:64], v[67:68], -v[71:72]
	v_mul_f64 v[63:64], v[63:64], v[69:70]
	v_fma_f64 v[73:74], v[65:66], v[67:68], v[63:64]
	global_load_dwordx4 v[67:70], v[75:76], off offset:1296
	ds_read_b128 v[63:66], v58 offset:1296
	ds_write_b128 v58, v[71:74]
	s_waitcnt vmcnt(0) lgkmcnt(1)
	v_mul_f64 v[71:72], v[65:66], v[69:70]
	v_fma_f64 v[71:72], v[63:64], v[67:68], -v[71:72]
	v_mul_f64 v[63:64], v[63:64], v[69:70]
	v_fma_f64 v[73:74], v[65:66], v[67:68], v[63:64]
	global_load_dwordx4 v[67:70], v[75:76], off offset:2592
	ds_read_b128 v[63:66], v58 offset:2592
	ds_write_b128 v58, v[71:74] offset:1296
	s_waitcnt vmcnt(0) lgkmcnt(1)
	v_mul_f64 v[71:72], v[65:66], v[69:70]
	v_fma_f64 v[71:72], v[63:64], v[67:68], -v[71:72]
	v_mul_f64 v[63:64], v[63:64], v[69:70]
	v_fma_f64 v[73:74], v[65:66], v[67:68], v[63:64]
	global_load_dwordx4 v[67:70], v[75:76], off offset:3888
	ds_read_b128 v[63:66], v58 offset:3888
	v_add_co_u32_e32 v75, vcc, s8, v77
	v_addc_co_u32_e32 v76, vcc, 0, v78, vcc
	ds_write_b128 v58, v[71:74] offset:2592
	s_waitcnt vmcnt(0) lgkmcnt(1)
	v_mul_f64 v[71:72], v[65:66], v[69:70]
	v_fma_f64 v[71:72], v[63:64], v[67:68], -v[71:72]
	v_mul_f64 v[63:64], v[63:64], v[69:70]
	v_fma_f64 v[73:74], v[65:66], v[67:68], v[63:64]
	global_load_dwordx4 v[67:70], v[75:76], off offset:672
	ds_read_b128 v[63:66], v58 offset:5184
	ds_write_b128 v58, v[71:74] offset:3888
	s_waitcnt vmcnt(0) lgkmcnt(1)
	v_mul_f64 v[71:72], v[65:66], v[69:70]
	v_fma_f64 v[71:72], v[63:64], v[67:68], -v[71:72]
	v_mul_f64 v[63:64], v[63:64], v[69:70]
	v_fma_f64 v[73:74], v[65:66], v[67:68], v[63:64]
	global_load_dwordx4 v[67:70], v[75:76], off offset:1968
	ds_read_b128 v[63:66], v58 offset:6480
	ds_write_b128 v58, v[71:74] offset:5184
	s_waitcnt vmcnt(0) lgkmcnt(1)
	v_mul_f64 v[71:72], v[65:66], v[69:70]
	v_fma_f64 v[71:72], v[63:64], v[67:68], -v[71:72]
	v_mul_f64 v[63:64], v[63:64], v[69:70]
	v_fma_f64 v[73:74], v[65:66], v[67:68], v[63:64]
	ds_write_b128 v58, v[71:74] offset:6480
.LBB0_9:
	s_or_b64 exec, exec, s[2:3]
	s_waitcnt lgkmcnt(0)
	s_barrier
	s_and_saveexec_b64 s[2:3], s[0:1]
	s_cbranch_execz .LBB0_11
; %bb.10:
	ds_read_b128 v[44:47], v58
	ds_read_b128 v[48:51], v58 offset:1296
	ds_read_b128 v[52:55], v58 offset:2592
	;; [unrolled: 1-line block ×5, first 2 shown]
.LBB0_11:
	s_or_b64 exec, exec, s[2:3]
	s_waitcnt lgkmcnt(0)
	s_barrier
	s_and_saveexec_b64 s[2:3], s[0:1]
	s_cbranch_execz .LBB0_13
; %bb.12:
	v_add_f64 v[63:64], v[14:15], v[18:19]
	v_add_f64 v[65:66], v[54:55], v[10:11]
	;; [unrolled: 1-line block ×3, first 2 shown]
	v_add_f64 v[73:74], v[12:13], -v[16:17]
	s_mov_b32 s8, 0xe8584caa
	s_mov_b32 s9, 0xbfebb67a
	;; [unrolled: 1-line block ×4, first 2 shown]
	v_fma_f64 v[63:64], v[63:64], -0.5, v[50:51]
	v_add_f64 v[67:68], v[52:53], -v[8:9]
	v_add_f64 v[71:72], v[14:15], -v[18:19]
	v_add_f64 v[75:76], v[46:47], v[54:55]
	v_add_f64 v[14:15], v[50:51], v[14:15]
	;; [unrolled: 1-line block ×3, first 2 shown]
	v_fma_f64 v[69:70], v[69:70], -0.5, v[48:49]
	v_fma_f64 v[46:47], v[65:66], -0.5, v[46:47]
	v_fma_f64 v[77:78], v[73:74], s[8:9], v[63:64]
	v_fma_f64 v[63:64], v[73:74], s[10:11], v[63:64]
	v_add_f64 v[52:53], v[44:45], v[52:53]
	v_add_f64 v[12:13], v[48:49], v[12:13]
	v_add_f64 v[54:55], v[54:55], -v[10:11]
	v_add_f64 v[48:49], v[75:76], v[10:11]
	v_fma_f64 v[10:11], v[71:72], s[10:11], v[69:70]
	v_fma_f64 v[65:66], v[71:72], s[8:9], v[69:70]
	v_add_f64 v[73:74], v[14:15], v[18:19]
	v_mul_f64 v[71:72], v[63:64], 0.5
	v_fma_f64 v[14:15], v[50:51], -0.5, v[44:45]
	v_fma_f64 v[44:45], v[67:68], s[8:9], v[46:47]
	v_fma_f64 v[50:51], v[67:68], s[10:11], v[46:47]
	v_mul_f64 v[46:47], v[63:64], s[8:9]
	v_mul_f64 v[69:70], v[77:78], -0.5
	v_mul_f64 v[18:19], v[77:78], s[8:9]
	v_add_f64 v[8:9], v[52:53], v[8:9]
	v_add_f64 v[12:13], v[12:13], v[16:17]
	v_fma_f64 v[67:68], v[65:66], s[10:11], v[71:72]
	v_fma_f64 v[71:72], v[54:55], s[8:9], v[14:15]
	v_lshlrev_b32_e32 v59, 4, v59
	v_fma_f64 v[65:66], v[65:66], 0.5, v[46:47]
	v_fma_f64 v[63:64], v[10:11], s[10:11], v[69:70]
	v_fma_f64 v[69:70], v[54:55], s[10:11], v[14:15]
	v_fma_f64 v[75:76], v[10:11], -0.5, v[18:19]
	v_add_f64 v[54:55], v[48:49], v[73:74]
	v_add_f64 v[52:53], v[8:9], v[12:13]
	v_add_f64 v[14:15], v[50:51], -v[67:68]
	v_add_f64 v[18:19], v[48:49], -v[73:74]
	v_add_f64 v[50:51], v[50:51], v[67:68]
	v_add_f64 v[48:49], v[71:72], v[65:66]
	v_add_f64 v[10:11], v[44:45], -v[63:64]
	v_add_f64 v[46:47], v[44:45], v[63:64]
	v_add_f64 v[44:45], v[69:70], v[75:76]
	v_add_f64 v[16:17], v[8:9], -v[12:13]
	v_add_f64 v[12:13], v[71:72], -v[65:66]
	;; [unrolled: 1-line block ×3, first 2 shown]
	ds_write_b128 v59, v[52:55]
	ds_write_b128 v59, v[48:51] offset:16
	ds_write_b128 v59, v[44:47] offset:32
	;; [unrolled: 1-line block ×5, first 2 shown]
.LBB0_13:
	s_or_b64 exec, exec, s[2:3]
	s_waitcnt lgkmcnt(0)
	s_barrier
	ds_read_b128 v[8:11], v58 offset:2592
	ds_read_b128 v[12:15], v58 offset:5184
	s_mov_b32 s2, 0xe8584caa
	s_mov_b32 s3, 0xbfebb67a
	;; [unrolled: 1-line block ×3, first 2 shown]
	s_waitcnt lgkmcnt(1)
	v_mul_f64 v[16:17], v[6:7], v[10:11]
	v_mul_f64 v[6:7], v[6:7], v[8:9]
	s_waitcnt lgkmcnt(0)
	v_mul_f64 v[18:19], v[2:3], v[14:15]
	v_mul_f64 v[2:3], v[2:3], v[12:13]
	s_mov_b32 s8, s2
	v_fma_f64 v[8:9], v[4:5], v[8:9], v[16:17]
	v_fma_f64 v[4:5], v[4:5], v[10:11], -v[6:7]
	v_fma_f64 v[6:7], v[0:1], v[12:13], v[18:19]
	v_fma_f64 v[10:11], v[0:1], v[14:15], -v[2:3]
	ds_read_b128 v[0:3], v58
	s_waitcnt lgkmcnt(0)
	s_barrier
	v_add_f64 v[16:17], v[0:1], v[8:9]
	v_add_f64 v[12:13], v[8:9], v[6:7]
	;; [unrolled: 1-line block ×3, first 2 shown]
	v_add_f64 v[18:19], v[4:5], -v[10:11]
	v_add_f64 v[4:5], v[2:3], v[4:5]
	v_add_f64 v[44:45], v[8:9], -v[6:7]
	v_fma_f64 v[8:9], v[12:13], -0.5, v[0:1]
	v_fma_f64 v[12:13], v[14:15], -0.5, v[2:3]
	v_add_f64 v[0:1], v[16:17], v[6:7]
	v_add_f64 v[2:3], v[4:5], v[10:11]
	v_fma_f64 v[4:5], v[18:19], s[2:3], v[8:9]
	v_fma_f64 v[6:7], v[44:45], s[8:9], v[12:13]
	;; [unrolled: 1-line block ×4, first 2 shown]
	ds_write_b128 v60, v[0:3]
	ds_write_b128 v60, v[4:7] offset:96
	ds_write_b128 v60, v[8:11] offset:192
	s_waitcnt lgkmcnt(0)
	s_barrier
	ds_read_b128 v[0:3], v58 offset:2592
	ds_read_b128 v[4:7], v58 offset:5184
	s_waitcnt lgkmcnt(1)
	v_mul_f64 v[8:9], v[26:27], v[2:3]
	s_waitcnt lgkmcnt(0)
	v_mul_f64 v[10:11], v[22:23], v[6:7]
	v_mul_f64 v[12:13], v[26:27], v[0:1]
	;; [unrolled: 1-line block ×3, first 2 shown]
	v_fma_f64 v[8:9], v[24:25], v[0:1], v[8:9]
	v_fma_f64 v[4:5], v[20:21], v[4:5], v[10:11]
	v_fma_f64 v[10:11], v[24:25], v[2:3], -v[12:13]
	v_fma_f64 v[6:7], v[20:21], v[6:7], -v[14:15]
	ds_read_b128 v[0:3], v58
	s_waitcnt lgkmcnt(0)
	s_barrier
	v_add_f64 v[12:13], v[8:9], v[4:5]
	v_add_f64 v[16:17], v[0:1], v[8:9]
	;; [unrolled: 1-line block ×3, first 2 shown]
	v_add_f64 v[18:19], v[10:11], -v[6:7]
	v_add_f64 v[10:11], v[2:3], v[10:11]
	v_add_f64 v[20:21], v[8:9], -v[4:5]
	v_fma_f64 v[12:13], v[12:13], -0.5, v[0:1]
	v_add_f64 v[0:1], v[16:17], v[4:5]
	v_fma_f64 v[14:15], v[14:15], -0.5, v[2:3]
	v_add_f64 v[2:3], v[10:11], v[6:7]
	v_fma_f64 v[4:5], v[18:19], s[2:3], v[12:13]
	v_fma_f64 v[8:9], v[18:19], s[8:9], v[12:13]
	;; [unrolled: 1-line block ×4, first 2 shown]
	ds_write_b128 v61, v[0:3]
	ds_write_b128 v61, v[4:7] offset:288
	ds_write_b128 v61, v[8:11] offset:576
	s_waitcnt lgkmcnt(0)
	s_barrier
	ds_read_b128 v[0:3], v58 offset:2592
	ds_read_b128 v[4:7], v58 offset:5184
	s_waitcnt lgkmcnt(1)
	v_mul_f64 v[8:9], v[34:35], v[2:3]
	s_waitcnt lgkmcnt(0)
	v_mul_f64 v[10:11], v[30:31], v[6:7]
	v_mul_f64 v[12:13], v[34:35], v[0:1]
	;; [unrolled: 1-line block ×3, first 2 shown]
	v_fma_f64 v[8:9], v[32:33], v[0:1], v[8:9]
	v_fma_f64 v[4:5], v[28:29], v[4:5], v[10:11]
	v_fma_f64 v[10:11], v[32:33], v[2:3], -v[12:13]
	v_fma_f64 v[6:7], v[28:29], v[6:7], -v[14:15]
	ds_read_b128 v[0:3], v58
	s_waitcnt lgkmcnt(0)
	s_barrier
	v_add_f64 v[12:13], v[8:9], v[4:5]
	v_add_f64 v[16:17], v[0:1], v[8:9]
	;; [unrolled: 1-line block ×3, first 2 shown]
	v_add_f64 v[18:19], v[10:11], -v[6:7]
	v_add_f64 v[10:11], v[2:3], v[10:11]
	v_add_f64 v[20:21], v[8:9], -v[4:5]
	v_fma_f64 v[12:13], v[12:13], -0.5, v[0:1]
	v_add_f64 v[0:1], v[16:17], v[4:5]
	v_fma_f64 v[14:15], v[14:15], -0.5, v[2:3]
	v_add_f64 v[2:3], v[10:11], v[6:7]
	v_fma_f64 v[4:5], v[18:19], s[2:3], v[12:13]
	v_fma_f64 v[8:9], v[18:19], s[8:9], v[12:13]
	;; [unrolled: 1-line block ×4, first 2 shown]
	ds_write_b128 v62, v[0:3]
	ds_write_b128 v62, v[4:7] offset:864
	ds_write_b128 v62, v[8:11] offset:1728
	s_waitcnt lgkmcnt(0)
	s_barrier
	ds_read_b128 v[0:3], v58 offset:2592
	ds_read_b128 v[4:7], v58 offset:5184
	s_waitcnt lgkmcnt(1)
	v_mul_f64 v[8:9], v[38:39], v[2:3]
	s_waitcnt lgkmcnt(0)
	v_mul_f64 v[10:11], v[42:43], v[6:7]
	v_mul_f64 v[12:13], v[38:39], v[0:1]
	;; [unrolled: 1-line block ×3, first 2 shown]
	v_fma_f64 v[8:9], v[36:37], v[0:1], v[8:9]
	v_fma_f64 v[4:5], v[40:41], v[4:5], v[10:11]
	v_fma_f64 v[10:11], v[36:37], v[2:3], -v[12:13]
	v_fma_f64 v[6:7], v[40:41], v[6:7], -v[14:15]
	ds_read_b128 v[0:3], v58
	v_add_f64 v[12:13], v[8:9], v[4:5]
	s_waitcnt lgkmcnt(0)
	v_add_f64 v[16:17], v[0:1], v[8:9]
	v_add_f64 v[14:15], v[10:11], v[6:7]
	v_add_f64 v[18:19], v[10:11], -v[6:7]
	v_add_f64 v[10:11], v[2:3], v[10:11]
	v_add_f64 v[20:21], v[8:9], -v[4:5]
	v_fma_f64 v[12:13], v[12:13], -0.5, v[0:1]
	v_add_f64 v[0:1], v[16:17], v[4:5]
	v_fma_f64 v[14:15], v[14:15], -0.5, v[2:3]
	v_add_f64 v[2:3], v[10:11], v[6:7]
	v_fma_f64 v[4:5], v[18:19], s[2:3], v[12:13]
	v_fma_f64 v[8:9], v[18:19], s[8:9], v[12:13]
	;; [unrolled: 1-line block ×4, first 2 shown]
	ds_write_b128 v58, v[0:3]
	ds_write_b128 v58, v[4:7] offset:2592
	ds_write_b128 v58, v[8:11] offset:5184
	s_waitcnt lgkmcnt(0)
	s_barrier
	s_and_b64 exec, exec, s[0:1]
	s_cbranch_execz .LBB0_15
; %bb.14:
	v_mov_b32_e32 v0, s15
	v_add_co_u32_e32 v16, vcc, s14, v58
	v_addc_co_u32_e32 v17, vcc, 0, v0, vcc
	global_load_dwordx4 v[0:3], v58, s[14:15]
	global_load_dwordx4 v[4:7], v58, s[14:15] offset:1296
	global_load_dwordx4 v[8:11], v58, s[14:15] offset:2592
	;; [unrolled: 1-line block ×3, first 2 shown]
	s_movk_i32 s0, 0x1000
	v_add_co_u32_e32 v24, vcc, s0, v16
	v_addc_co_u32_e32 v25, vcc, 0, v17, vcc
	global_load_dwordx4 v[16:19], v[24:25], off offset:1088
	global_load_dwordx4 v[20:23], v[24:25], off offset:2384
	v_mad_u64_u32 v[48:49], s[0:1], s6, v56, 0
	v_mad_u64_u32 v[50:51], s[2:3], s4, v57, 0
	s_mul_i32 s2, s5, 0x510
	s_mul_hi_u32 s3, s4, 0x510
	s_add_i32 s6, s3, s2
	v_mad_u64_u32 v[52:53], s[2:3], s7, v56, v[49:50]
	v_mov_b32_e32 v55, s13
	s_mulk_i32 s4, 0x510
	v_mad_u64_u32 v[53:54], s[2:3], s5, v57, v[51:52]
	v_mov_b32_e32 v49, v52
	v_lshlrev_b64 v[48:49], 4, v[48:49]
	v_mov_b32_e32 v51, v53
	v_lshlrev_b64 v[50:51], 4, v[50:51]
	v_add_co_u32_e32 v48, vcc, s12, v48
	v_addc_co_u32_e32 v49, vcc, v55, v49, vcc
	v_add_co_u32_e32 v48, vcc, v48, v50
	v_addc_co_u32_e32 v49, vcc, v49, v51, vcc
	ds_read_b128 v[24:27], v58
	ds_read_b128 v[28:31], v58 offset:1296
	ds_read_b128 v[32:35], v58 offset:2592
	;; [unrolled: 1-line block ×5, first 2 shown]
	v_mov_b32_e32 v58, s6
	v_add_co_u32_e32 v50, vcc, s4, v48
	v_addc_co_u32_e32 v51, vcc, v49, v58, vcc
	v_mov_b32_e32 v59, s6
	v_add_co_u32_e32 v52, vcc, s4, v50
	v_addc_co_u32_e32 v53, vcc, v51, v59, vcc
	;; [unrolled: 3-line block ×3, first 2 shown]
	s_mov_b32 s0, 0xa88f4696
	s_mov_b32 s1, 0x3f60db20
	v_mov_b32_e32 v68, s6
	s_waitcnt vmcnt(5) lgkmcnt(5)
	v_mul_f64 v[56:57], v[26:27], v[2:3]
	v_mul_f64 v[2:3], v[24:25], v[2:3]
	s_waitcnt vmcnt(4) lgkmcnt(4)
	v_mul_f64 v[58:59], v[30:31], v[6:7]
	v_mul_f64 v[6:7], v[28:29], v[6:7]
	;; [unrolled: 3-line block ×5, first 2 shown]
	s_waitcnt vmcnt(0) lgkmcnt(0)
	v_mul_f64 v[66:67], v[46:47], v[22:23]
	v_fma_f64 v[24:25], v[24:25], v[0:1], v[56:57]
	v_fma_f64 v[2:3], v[0:1], v[26:27], -v[2:3]
	v_mul_f64 v[22:23], v[44:45], v[22:23]
	v_fma_f64 v[26:27], v[28:29], v[4:5], v[58:59]
	v_fma_f64 v[6:7], v[4:5], v[30:31], -v[6:7]
	v_fma_f64 v[28:29], v[32:33], v[8:9], v[60:61]
	v_fma_f64 v[10:11], v[8:9], v[34:35], -v[10:11]
	v_fma_f64 v[30:31], v[36:37], v[12:13], v[62:63]
	v_fma_f64 v[14:15], v[12:13], v[38:39], -v[14:15]
	v_fma_f64 v[32:33], v[40:41], v[16:17], v[64:65]
	v_fma_f64 v[18:19], v[16:17], v[42:43], -v[18:19]
	v_mul_f64 v[0:1], v[24:25], s[0:1]
	v_mul_f64 v[2:3], v[2:3], s[0:1]
	v_fma_f64 v[24:25], v[44:45], v[20:21], v[66:67]
	v_fma_f64 v[20:21], v[20:21], v[46:47], -v[22:23]
	v_mul_f64 v[4:5], v[26:27], s[0:1]
	v_mul_f64 v[6:7], v[6:7], s[0:1]
	;; [unrolled: 1-line block ×8, first 2 shown]
	global_store_dwordx4 v[48:49], v[0:3], off
	global_store_dwordx4 v[50:51], v[4:7], off
	;; [unrolled: 1-line block ×4, first 2 shown]
	v_mul_f64 v[0:1], v[24:25], s[0:1]
	v_mul_f64 v[2:3], v[20:21], s[0:1]
	v_add_co_u32_e32 v4, vcc, s4, v54
	v_addc_co_u32_e32 v5, vcc, v55, v68, vcc
	global_store_dwordx4 v[4:5], v[16:19], off
	v_mov_b32_e32 v6, s6
	v_add_co_u32_e32 v4, vcc, s4, v4
	v_addc_co_u32_e32 v5, vcc, v5, v6, vcc
	global_store_dwordx4 v[4:5], v[0:3], off
.LBB0_15:
	s_endpgm
	.section	.rodata,"a",@progbits
	.p2align	6, 0x0
	.amdhsa_kernel bluestein_single_back_len486_dim1_dp_op_CI_CI
		.amdhsa_group_segment_fixed_size 7776
		.amdhsa_private_segment_fixed_size 0
		.amdhsa_kernarg_size 104
		.amdhsa_user_sgpr_count 6
		.amdhsa_user_sgpr_private_segment_buffer 1
		.amdhsa_user_sgpr_dispatch_ptr 0
		.amdhsa_user_sgpr_queue_ptr 0
		.amdhsa_user_sgpr_kernarg_segment_ptr 1
		.amdhsa_user_sgpr_dispatch_id 0
		.amdhsa_user_sgpr_flat_scratch_init 0
		.amdhsa_user_sgpr_private_segment_size 0
		.amdhsa_uses_dynamic_stack 0
		.amdhsa_system_sgpr_private_segment_wavefront_offset 0
		.amdhsa_system_sgpr_workgroup_id_x 1
		.amdhsa_system_sgpr_workgroup_id_y 0
		.amdhsa_system_sgpr_workgroup_id_z 0
		.amdhsa_system_sgpr_workgroup_info 0
		.amdhsa_system_vgpr_workitem_id 0
		.amdhsa_next_free_vgpr 79
		.amdhsa_next_free_sgpr 18
		.amdhsa_reserve_vcc 1
		.amdhsa_reserve_flat_scratch 0
		.amdhsa_float_round_mode_32 0
		.amdhsa_float_round_mode_16_64 0
		.amdhsa_float_denorm_mode_32 3
		.amdhsa_float_denorm_mode_16_64 3
		.amdhsa_dx10_clamp 1
		.amdhsa_ieee_mode 1
		.amdhsa_fp16_overflow 0
		.amdhsa_exception_fp_ieee_invalid_op 0
		.amdhsa_exception_fp_denorm_src 0
		.amdhsa_exception_fp_ieee_div_zero 0
		.amdhsa_exception_fp_ieee_overflow 0
		.amdhsa_exception_fp_ieee_underflow 0
		.amdhsa_exception_fp_ieee_inexact 0
		.amdhsa_exception_int_div_zero 0
	.end_amdhsa_kernel
	.text
.Lfunc_end0:
	.size	bluestein_single_back_len486_dim1_dp_op_CI_CI, .Lfunc_end0-bluestein_single_back_len486_dim1_dp_op_CI_CI
                                        ; -- End function
	.section	.AMDGPU.csdata,"",@progbits
; Kernel info:
; codeLenInByte = 5112
; NumSgprs: 22
; NumVgprs: 79
; ScratchSize: 0
; MemoryBound: 0
; FloatMode: 240
; IeeeMode: 1
; LDSByteSize: 7776 bytes/workgroup (compile time only)
; SGPRBlocks: 2
; VGPRBlocks: 19
; NumSGPRsForWavesPerEU: 22
; NumVGPRsForWavesPerEU: 79
; Occupancy: 3
; WaveLimiterHint : 1
; COMPUTE_PGM_RSRC2:SCRATCH_EN: 0
; COMPUTE_PGM_RSRC2:USER_SGPR: 6
; COMPUTE_PGM_RSRC2:TRAP_HANDLER: 0
; COMPUTE_PGM_RSRC2:TGID_X_EN: 1
; COMPUTE_PGM_RSRC2:TGID_Y_EN: 0
; COMPUTE_PGM_RSRC2:TGID_Z_EN: 0
; COMPUTE_PGM_RSRC2:TIDIG_COMP_CNT: 0
	.type	__hip_cuid_dc5921a9d692a271,@object ; @__hip_cuid_dc5921a9d692a271
	.section	.bss,"aw",@nobits
	.globl	__hip_cuid_dc5921a9d692a271
__hip_cuid_dc5921a9d692a271:
	.byte	0                               ; 0x0
	.size	__hip_cuid_dc5921a9d692a271, 1

	.ident	"AMD clang version 19.0.0git (https://github.com/RadeonOpenCompute/llvm-project roc-6.4.0 25133 c7fe45cf4b819c5991fe208aaa96edf142730f1d)"
	.section	".note.GNU-stack","",@progbits
	.addrsig
	.addrsig_sym __hip_cuid_dc5921a9d692a271
	.amdgpu_metadata
---
amdhsa.kernels:
  - .args:
      - .actual_access:  read_only
        .address_space:  global
        .offset:         0
        .size:           8
        .value_kind:     global_buffer
      - .actual_access:  read_only
        .address_space:  global
        .offset:         8
        .size:           8
        .value_kind:     global_buffer
      - .actual_access:  read_only
        .address_space:  global
        .offset:         16
        .size:           8
        .value_kind:     global_buffer
      - .actual_access:  read_only
        .address_space:  global
        .offset:         24
        .size:           8
        .value_kind:     global_buffer
      - .actual_access:  read_only
        .address_space:  global
        .offset:         32
        .size:           8
        .value_kind:     global_buffer
      - .offset:         40
        .size:           8
        .value_kind:     by_value
      - .address_space:  global
        .offset:         48
        .size:           8
        .value_kind:     global_buffer
      - .address_space:  global
        .offset:         56
        .size:           8
        .value_kind:     global_buffer
      - .address_space:  global
        .offset:         64
        .size:           8
        .value_kind:     global_buffer
      - .address_space:  global
        .offset:         72
        .size:           8
        .value_kind:     global_buffer
      - .offset:         80
        .size:           4
        .value_kind:     by_value
      - .address_space:  global
        .offset:         88
        .size:           8
        .value_kind:     global_buffer
      - .address_space:  global
        .offset:         96
        .size:           8
        .value_kind:     global_buffer
    .group_segment_fixed_size: 7776
    .kernarg_segment_align: 8
    .kernarg_segment_size: 104
    .language:       OpenCL C
    .language_version:
      - 2
      - 0
    .max_flat_workgroup_size: 162
    .name:           bluestein_single_back_len486_dim1_dp_op_CI_CI
    .private_segment_fixed_size: 0
    .sgpr_count:     22
    .sgpr_spill_count: 0
    .symbol:         bluestein_single_back_len486_dim1_dp_op_CI_CI.kd
    .uniform_work_group_size: 1
    .uses_dynamic_stack: false
    .vgpr_count:     79
    .vgpr_spill_count: 0
    .wavefront_size: 64
amdhsa.target:   amdgcn-amd-amdhsa--gfx906
amdhsa.version:
  - 1
  - 2
...

	.end_amdgpu_metadata
